;; amdgpu-corpus repo=pytorch/pytorch kind=compiled arch=gfx1100 opt=O3
	.text
	.amdgcn_target "amdgcn-amd-amdhsa--gfx1100"
	.amdhsa_code_object_version 6
	.section	.text._ZN2at6native6detailL51split_with_sizes_copy_out_contiguous_no_cast_kernelEPPcS3_PlS4_S4_ll,"axG",@progbits,_ZN2at6native6detailL51split_with_sizes_copy_out_contiguous_no_cast_kernelEPPcS3_PlS4_S4_ll,comdat
	.globl	_ZN2at6native6detailL51split_with_sizes_copy_out_contiguous_no_cast_kernelEPPcS3_PlS4_S4_ll ; -- Begin function _ZN2at6native6detailL51split_with_sizes_copy_out_contiguous_no_cast_kernelEPPcS3_PlS4_S4_ll
	.p2align	8
	.type	_ZN2at6native6detailL51split_with_sizes_copy_out_contiguous_no_cast_kernelEPPcS3_PlS4_S4_ll,@function
_ZN2at6native6detailL51split_with_sizes_copy_out_contiguous_no_cast_kernelEPPcS3_PlS4_S4_ll: ; @_ZN2at6native6detailL51split_with_sizes_copy_out_contiguous_no_cast_kernelEPPcS3_PlS4_S4_ll
; %bb.0:
	s_load_b128 s[16:19], s[0:1], 0x30
	s_mov_b32 s12, s15
	s_mov_b32 s13, 0
	s_waitcnt lgkmcnt(0)
	v_cmp_ge_i64_e64 s2, s[12:13], s[16:17]
	s_delay_alu instid0(VALU_DEP_1)
	s_and_b32 vcc_lo, exec_lo, s2
	s_cbranch_vccnz .LBB0_14
; %bb.1:
	s_load_b256 s[4:11], s[0:1], 0x0
	s_mov_b32 s15, s13
	v_dual_mov_b32 v7, 0 :: v_dual_lshlrev_b32 v6, 4, v0
	s_lshl_b64 s[2:3], s[14:15], 3
	s_waitcnt lgkmcnt(0)
	s_add_u32 s2, s10, s2
	s_addc_u32 s3, s11, s3
	s_load_b64 s[2:3], s[2:3], 0x0
	s_clause 0x2
	s_load_b128 s[20:23], s[0:1], 0x20
	s_load_b32 s24, s[0:1], 0x3c
	s_load_b32 s18, s[0:1], 0x44
	s_waitcnt lgkmcnt(0)
	s_lshl_b64 s[10:11], s[2:3], 3
	s_mul_i32 s25, s22, s12
	s_add_u32 s0, s20, s10
	s_addc_u32 s1, s21, s11
	s_and_b32 s28, s18, 0xffff
	s_load_b128 s[0:3], s[0:1], 0x0
	s_mul_i32 s20, s23, s12
	s_mul_hi_u32 s21, s22, s12
	s_mul_i32 s26, s23, s24
	s_mul_hi_u32 s27, s22, s24
	s_waitcnt lgkmcnt(0)
	s_sub_u32 s18, s14, s0
	s_subb_u32 s19, 0, s1
	s_mul_hi_u32 s29, s18, s28
	s_mul_i32 s19, s19, s28
	s_mul_i32 s18, s18, s28
	s_add_i32 s19, s29, s19
	s_add_u32 s8, s8, s10
	s_addc_u32 s9, s9, s11
	s_add_u32 s4, s4, s10
	s_addc_u32 s5, s5, s11
	;; [unrolled: 2-line block ×3, first 2 shown]
	s_load_b64 s[8:9], s[8:9], 0x0
	s_load_b64 s[6:7], s[6:7], 0x0
	;; [unrolled: 1-line block ×3, first 2 shown]
	s_sub_u32 s2, s2, s0
	s_subb_u32 s3, s3, s1
	s_lshl_b64 s[10:11], s[14:15], 4
	s_mul_hi_u32 s15, s2, s28
	s_mul_i32 s3, s3, s28
	s_mul_i32 s14, s2, s28
	s_add_i32 s15, s15, s3
	s_lshl_b64 s[0:1], s[0:1], 4
	s_lshl_b64 s[2:3], s[14:15], 4
	s_sub_u32 s0, s10, s0
	v_add_co_u32 v0, s29, s18, v0
	v_mad_u64_u32 v[4:5], null, s0, s28, v[6:7]
	v_add_co_ci_u32_e64 v1, null, s19, 0, s29
	s_subb_u32 s29, s11, s1
	s_lshl_b64 s[10:11], s[18:19], 4
	s_add_i32 s21, s21, s20
	s_add_u32 s18, s10, s25
	s_addc_u32 s19, s11, s21
	s_waitcnt lgkmcnt(0)
	v_cmp_ge_i64_e64 s1, s[8:9], s[14:15]
	s_mul_i32 s14, s9, s12
	s_mul_hi_u32 s15, s8, s12
	s_mul_i32 s21, s8, s12
	s_add_u32 s18, s6, s18
	s_addc_u32 s19, s7, s19
	s_add_i32 s20, s27, s26
	s_add_i32 s15, s15, s14
	s_add_u32 s10, s10, s21
	v_mad_u64_u32 v[9:10], null, s29, s28, v[5:6]
	v_add_co_u32 v5, s14, s18, v6
	s_addc_u32 s11, s11, s15
	s_add_u32 s10, s4, s10
	v_add_co_ci_u32_e64 v8, null, s19, 0, s14
	s_addc_u32 s11, s5, s11
	v_add_co_u32 v6, s10, s10, v6
	s_delay_alu instid0(VALU_DEP_1) | instskip(SKIP_2) | instid1(VALU_DEP_4)
	v_add_co_ci_u32_e64 v11, null, s11, 0, s10
	v_add_co_u32 v7, vcc_lo, v5, 8
	v_add_co_ci_u32_e32 v8, vcc_lo, 0, v8, vcc_lo
	v_add_co_u32 v10, vcc_lo, v6, 8
	v_lshlrev_b64 v[2:3], 4, v[0:1]
	v_cmp_gt_i64_e64 s0, s[8:9], v[0:1]
	v_add_co_ci_u32_e32 v11, vcc_lo, 0, v11, vcc_lo
	s_mul_i32 s25, s9, s24
	s_mul_hi_u32 s10, s8, s24
	s_mul_i32 s21, s22, s24
	s_add_i32 s25, s10, s25
	s_mul_i32 s26, s8, s24
	s_branch .LBB0_3
.LBB0_2:                                ;   in Loop: Header=BB0_3 Depth=1
	s_or_b32 exec_lo, exec_lo, s11
	s_add_u32 s12, s12, s24
	s_addc_u32 s13, s13, 0
	v_add_co_u32 v7, vcc_lo, v7, s21
	v_cmp_ge_i64_e64 s10, s[12:13], s[16:17]
	v_add_co_ci_u32_e32 v8, vcc_lo, s20, v8, vcc_lo
	v_add_co_u32 v10, vcc_lo, v10, s26
	v_add_co_ci_u32_e32 v11, vcc_lo, s25, v11, vcc_lo
	s_delay_alu instid0(VALU_DEP_4)
	s_and_b32 vcc_lo, exec_lo, s10
	s_cbranch_vccnz .LBB0_14
.LBB0_3:                                ; =>This Loop Header: Depth=1
                                        ;     Child Loop BB0_6 Depth 2
	s_mul_i32 s10, s12, s9
	s_mul_hi_u32 s11, s12, s8
	s_mul_i32 s14, s12, s8
	s_add_i32 s10, s11, s10
	s_mul_i32 s11, s13, s8
	s_delay_alu instid0(SALU_CYCLE_1)
	s_add_i32 s10, s10, s11
	s_add_u32 s27, s4, s14
	s_mul_i32 s11, s12, s23
	s_mul_hi_u32 s14, s12, s22
	s_addc_u32 s28, s5, s10
	s_add_i32 s10, s14, s11
	s_mul_i32 s11, s13, s22
	s_mul_i32 s14, s12, s22
	s_add_i32 s10, s10, s11
	s_add_u32 s29, s6, s14
	s_addc_u32 s30, s7, s10
	s_and_b32 vcc_lo, exec_lo, s1
	s_cbranch_vccz .LBB0_10
; %bb.4:                                ;   in Loop: Header=BB0_3 Depth=1
	s_add_u32 s10, s27, 15
	s_addc_u32 s11, s28, 0
	s_delay_alu instid0(SALU_CYCLE_1) | instskip(NEXT) | instid1(SALU_CYCLE_1)
	s_ashr_i32 s14, s11, 31
	s_lshr_b32 s14, s14, 28
	s_delay_alu instid0(SALU_CYCLE_1) | instskip(SKIP_2) | instid1(SALU_CYCLE_1)
	s_add_u32 s10, s10, s14
	s_addc_u32 s11, s11, 0
	s_and_b32 s10, s10, -16
	s_sub_u32 s14, s10, s27
	s_subb_u32 s15, s11, s28
	s_sub_u32 s10, s8, s14
	s_subb_u32 s11, s9, s15
	s_delay_alu instid0(SALU_CYCLE_1) | instskip(NEXT) | instid1(SALU_CYCLE_1)
	s_ashr_i32 s18, s11, 31
	s_lshr_b32 s18, s18, 28
	s_delay_alu instid0(SALU_CYCLE_1) | instskip(SKIP_2) | instid1(SALU_CYCLE_1)
	s_add_u32 s10, s10, s18
	s_addc_u32 s11, s11, 0
	s_and_b32 s10, s10, -16
	v_cmp_gt_i64_e32 vcc_lo, s[10:11], v[2:3]
	s_add_u32 s10, s10, s14
	s_addc_u32 s11, s11, s15
	s_and_saveexec_b32 s31, vcc_lo
	s_cbranch_execz .LBB0_7
; %bb.5:                                ;   in Loop: Header=BB0_3 Depth=1
	s_mov_b32 s33, 0
	s_mov_b64 s[18:19], s[14:15]
	.p2align	6
.LBB0_6:                                ;   Parent Loop BB0_3 Depth=1
                                        ; =>  This Inner Loop Header: Depth=2
	s_delay_alu instid0(SALU_CYCLE_1)
	v_add_co_u32 v5, vcc_lo, v7, s18
	v_add_co_ci_u32_e32 v6, vcc_lo, s19, v8, vcc_lo
	global_load_b128 v[12:15], v[5:6], off offset:-8
	v_add_co_u32 v5, vcc_lo, v10, s18
	s_add_u32 s18, s18, s2
	v_add_co_ci_u32_e32 v6, vcc_lo, s19, v11, vcc_lo
	s_addc_u32 s19, s19, s3
	v_add_co_u32 v16, vcc_lo, v4, s18
	v_add_co_ci_u32_e32 v17, vcc_lo, s19, v9, vcc_lo
	s_delay_alu instid0(VALU_DEP_1)
	v_cmp_le_i64_e32 vcc_lo, s[10:11], v[16:17]
	s_or_b32 s33, vcc_lo, s33
	s_waitcnt vmcnt(0)
	global_store_b128 v[5:6], v[12:15], off offset:-8
	s_and_not1_b32 exec_lo, exec_lo, s33
	s_cbranch_execnz .LBB0_6
.LBB0_7:                                ;   in Loop: Header=BB0_3 Depth=1
	s_or_b32 exec_lo, exec_lo, s31
	v_cmp_gt_i64_e32 vcc_lo, s[14:15], v[0:1]
	s_and_b32 s15, s0, vcc_lo
	s_delay_alu instid0(SALU_CYCLE_1)
	s_and_saveexec_b32 s14, s15
	s_cbranch_execz .LBB0_9
; %bb.8:                                ;   in Loop: Header=BB0_3 Depth=1
	v_add_co_u32 v5, vcc_lo, s29, v0
	v_add_co_ci_u32_e32 v6, vcc_lo, s30, v1, vcc_lo
	global_load_u8 v12, v[5:6], off
	v_add_co_u32 v5, vcc_lo, s27, v0
	v_add_co_ci_u32_e32 v6, vcc_lo, s28, v1, vcc_lo
	s_waitcnt vmcnt(0)
	global_store_b8 v[5:6], v12, off
.LBB0_9:                                ;   in Loop: Header=BB0_3 Depth=1
	s_or_b32 exec_lo, exec_lo, s14
	v_add_co_u32 v5, vcc_lo, s10, v0
	v_add_co_ci_u32_e32 v6, vcc_lo, s11, v1, vcc_lo
	s_delay_alu instid0(VALU_DEP_1)
	v_cmp_gt_i64_e64 s10, s[8:9], v[5:6]
	s_branch .LBB0_12
.LBB0_10:                               ;   in Loop: Header=BB0_3 Depth=1
	s_mov_b32 s10, 0
                                        ; implicit-def: $vgpr5_vgpr6
	s_cbranch_execz .LBB0_12
; %bb.11:                               ;   in Loop: Header=BB0_3 Depth=1
	v_dual_mov_b32 v6, v1 :: v_dual_mov_b32 v5, v0
	s_and_not1_b32 s10, s10, exec_lo
	s_and_b32 s11, s0, exec_lo
	s_delay_alu instid0(SALU_CYCLE_1)
	s_or_b32 s10, s10, s11
.LBB0_12:                               ;   in Loop: Header=BB0_3 Depth=1
	s_delay_alu instid0(VALU_DEP_1) | instid1(SALU_CYCLE_1)
	s_and_saveexec_b32 s11, s10
	s_cbranch_execz .LBB0_2
; %bb.13:                               ;   in Loop: Header=BB0_3 Depth=1
	v_add_co_u32 v12, vcc_lo, s29, v5
	v_add_co_ci_u32_e32 v13, vcc_lo, s30, v6, vcc_lo
	v_add_co_u32 v5, vcc_lo, s27, v5
	v_add_co_ci_u32_e32 v6, vcc_lo, s28, v6, vcc_lo
	global_load_u8 v12, v[12:13], off
	s_waitcnt vmcnt(0)
	global_store_b8 v[5:6], v12, off
	s_branch .LBB0_2
.LBB0_14:
	s_nop 0
	s_sendmsg sendmsg(MSG_DEALLOC_VGPRS)
	s_endpgm
	.section	.rodata,"a",@progbits
	.p2align	6, 0x0
	.amdhsa_kernel _ZN2at6native6detailL51split_with_sizes_copy_out_contiguous_no_cast_kernelEPPcS3_PlS4_S4_ll
		.amdhsa_group_segment_fixed_size 0
		.amdhsa_private_segment_fixed_size 0
		.amdhsa_kernarg_size 312
		.amdhsa_user_sgpr_count 14
		.amdhsa_user_sgpr_dispatch_ptr 0
		.amdhsa_user_sgpr_queue_ptr 0
		.amdhsa_user_sgpr_kernarg_segment_ptr 1
		.amdhsa_user_sgpr_dispatch_id 0
		.amdhsa_user_sgpr_private_segment_size 0
		.amdhsa_wavefront_size32 1
		.amdhsa_uses_dynamic_stack 0
		.amdhsa_enable_private_segment 0
		.amdhsa_system_sgpr_workgroup_id_x 1
		.amdhsa_system_sgpr_workgroup_id_y 1
		.amdhsa_system_sgpr_workgroup_id_z 0
		.amdhsa_system_sgpr_workgroup_info 0
		.amdhsa_system_vgpr_workitem_id 0
		.amdhsa_next_free_vgpr 18
		.amdhsa_next_free_sgpr 34
		.amdhsa_reserve_vcc 1
		.amdhsa_float_round_mode_32 0
		.amdhsa_float_round_mode_16_64 0
		.amdhsa_float_denorm_mode_32 3
		.amdhsa_float_denorm_mode_16_64 3
		.amdhsa_dx10_clamp 1
		.amdhsa_ieee_mode 1
		.amdhsa_fp16_overflow 0
		.amdhsa_workgroup_processor_mode 1
		.amdhsa_memory_ordered 1
		.amdhsa_forward_progress 0
		.amdhsa_shared_vgpr_count 0
		.amdhsa_exception_fp_ieee_invalid_op 0
		.amdhsa_exception_fp_denorm_src 0
		.amdhsa_exception_fp_ieee_div_zero 0
		.amdhsa_exception_fp_ieee_overflow 0
		.amdhsa_exception_fp_ieee_underflow 0
		.amdhsa_exception_fp_ieee_inexact 0
		.amdhsa_exception_int_div_zero 0
	.end_amdhsa_kernel
	.section	.text._ZN2at6native6detailL51split_with_sizes_copy_out_contiguous_no_cast_kernelEPPcS3_PlS4_S4_ll,"axG",@progbits,_ZN2at6native6detailL51split_with_sizes_copy_out_contiguous_no_cast_kernelEPPcS3_PlS4_S4_ll,comdat
.Lfunc_end0:
	.size	_ZN2at6native6detailL51split_with_sizes_copy_out_contiguous_no_cast_kernelEPPcS3_PlS4_S4_ll, .Lfunc_end0-_ZN2at6native6detailL51split_with_sizes_copy_out_contiguous_no_cast_kernelEPPcS3_PlS4_S4_ll
                                        ; -- End function
	.section	.AMDGPU.csdata,"",@progbits
; Kernel info:
; codeLenInByte = 1020
; NumSgprs: 36
; NumVgprs: 18
; ScratchSize: 0
; MemoryBound: 0
; FloatMode: 240
; IeeeMode: 1
; LDSByteSize: 0 bytes/workgroup (compile time only)
; SGPRBlocks: 4
; VGPRBlocks: 2
; NumSGPRsForWavesPerEU: 36
; NumVGPRsForWavesPerEU: 18
; Occupancy: 16
; WaveLimiterHint : 1
; COMPUTE_PGM_RSRC2:SCRATCH_EN: 0
; COMPUTE_PGM_RSRC2:USER_SGPR: 14
; COMPUTE_PGM_RSRC2:TRAP_HANDLER: 0
; COMPUTE_PGM_RSRC2:TGID_X_EN: 1
; COMPUTE_PGM_RSRC2:TGID_Y_EN: 1
; COMPUTE_PGM_RSRC2:TGID_Z_EN: 0
; COMPUTE_PGM_RSRC2:TIDIG_COMP_CNT: 0
	.section	.text._ZN2at6native6detailL21chunk_cat_cuda_kernelIccEEvPPT0_PT_PlS8_S8_S8_S8_S8_lll,"axG",@progbits,_ZN2at6native6detailL21chunk_cat_cuda_kernelIccEEvPPT0_PT_PlS8_S8_S8_S8_S8_lll,comdat
	.globl	_ZN2at6native6detailL21chunk_cat_cuda_kernelIccEEvPPT0_PT_PlS8_S8_S8_S8_S8_lll ; -- Begin function _ZN2at6native6detailL21chunk_cat_cuda_kernelIccEEvPPT0_PT_PlS8_S8_S8_S8_S8_lll
	.p2align	8
	.type	_ZN2at6native6detailL21chunk_cat_cuda_kernelIccEEvPPT0_PT_PlS8_S8_S8_S8_S8_lll,@function
_ZN2at6native6detailL21chunk_cat_cuda_kernelIccEEvPPT0_PT_PlS8_S8_S8_S8_S8_lll: ; @_ZN2at6native6detailL21chunk_cat_cuda_kernelIccEEvPPT0_PT_PlS8_S8_S8_S8_S8_lll
; %bb.0:
	s_load_b512 s[16:31], s[0:1], 0x0
	s_mov_b32 s6, s13
	s_mov_b32 s7, 0
	s_delay_alu instid0(SALU_CYCLE_1)
	s_lshl_b64 s[2:3], s[6:7], 3
	s_waitcnt lgkmcnt(0)
	s_add_u32 s2, s20, s2
	s_addc_u32 s3, s21, s3
	s_load_b64 s[2:3], s[2:3], 0x0
	s_waitcnt lgkmcnt(0)
	s_lshl_b64 s[34:35], s[2:3], 3
	s_delay_alu instid0(SALU_CYCLE_1)
	s_add_u32 s20, s24, s34
	s_addc_u32 s21, s25, s35
	s_add_u32 s10, s30, s34
	s_addc_u32 s11, s31, s35
	;; [unrolled: 2-line block ×5, first 2 shown]
	s_load_b64 s[4:5], s[2:3], 0x0
	s_load_b64 s[8:9], s[0:1], 0x50
	s_waitcnt lgkmcnt(0)
	s_mul_i32 s2, s5, s14
	s_mul_hi_u32 s3, s4, s14
	s_mul_i32 s26, s4, s14
	s_add_i32 s27, s3, s2
	s_delay_alu instid0(SALU_CYCLE_1) | instskip(SKIP_1) | instid1(SALU_CYCLE_1)
	s_or_b64 s[2:3], s[26:27], s[8:9]
	s_mov_b32 s2, s7
	s_cmp_lg_u64 s[2:3], 0
	s_cbranch_scc0 .LBB1_26
; %bb.1:
	s_ashr_i32 s2, s9, 31
	s_delay_alu instid0(SALU_CYCLE_1) | instskip(SKIP_2) | instid1(SALU_CYCLE_1)
	s_add_u32 s12, s8, s2
	s_mov_b32 s3, s2
	s_addc_u32 s13, s9, s2
	s_xor_b64 s[12:13], s[12:13], s[2:3]
	s_delay_alu instid0(SALU_CYCLE_1) | instskip(SKIP_3) | instid1(VALU_DEP_1)
	v_cvt_f32_u32_e32 v1, s12
	v_cvt_f32_u32_e32 v2, s13
	s_sub_u32 s30, 0, s12
	s_subb_u32 s31, 0, s13
	v_fmamk_f32 v1, v2, 0x4f800000, v1
	s_delay_alu instid0(VALU_DEP_1) | instskip(SKIP_2) | instid1(VALU_DEP_1)
	v_rcp_f32_e32 v1, v1
	s_waitcnt_depctr 0xfff
	v_mul_f32_e32 v1, 0x5f7ffffc, v1
	v_mul_f32_e32 v2, 0x2f800000, v1
	s_delay_alu instid0(VALU_DEP_1) | instskip(NEXT) | instid1(VALU_DEP_1)
	v_trunc_f32_e32 v2, v2
	v_fmamk_f32 v1, v2, 0xcf800000, v1
	v_cvt_u32_f32_e32 v2, v2
	s_delay_alu instid0(VALU_DEP_2) | instskip(NEXT) | instid1(VALU_DEP_2)
	v_cvt_u32_f32_e32 v1, v1
	v_readfirstlane_b32 s28, v2
	s_delay_alu instid0(VALU_DEP_2) | instskip(NEXT) | instid1(VALU_DEP_2)
	v_readfirstlane_b32 s29, v1
	s_mul_i32 s33, s30, s28
	s_delay_alu instid0(VALU_DEP_1)
	s_mul_hi_u32 s37, s30, s29
	s_mul_i32 s36, s31, s29
	s_add_i32 s33, s37, s33
	s_mul_i32 s38, s30, s29
	s_add_i32 s33, s33, s36
	s_mul_hi_u32 s37, s29, s38
	s_mul_hi_u32 s39, s28, s38
	s_mul_i32 s36, s28, s38
	s_mul_hi_u32 s38, s29, s33
	s_mul_i32 s29, s29, s33
	s_mul_hi_u32 s40, s28, s33
	s_add_u32 s29, s37, s29
	s_addc_u32 s37, 0, s38
	s_add_u32 s29, s29, s36
	s_mul_i32 s33, s28, s33
	s_addc_u32 s29, s37, s39
	s_addc_u32 s36, s40, 0
	s_add_u32 s29, s29, s33
	s_addc_u32 s33, 0, s36
	v_add_co_u32 v1, s29, v1, s29
	s_delay_alu instid0(VALU_DEP_1) | instskip(SKIP_1) | instid1(VALU_DEP_1)
	s_cmp_lg_u32 s29, 0
	s_addc_u32 s28, s28, s33
	v_readfirstlane_b32 s29, v1
	s_mul_i32 s33, s30, s28
	s_delay_alu instid0(VALU_DEP_1)
	s_mul_hi_u32 s36, s30, s29
	s_mul_i32 s31, s31, s29
	s_add_i32 s33, s36, s33
	s_mul_i32 s30, s30, s29
	s_add_i32 s33, s33, s31
	s_mul_hi_u32 s36, s28, s30
	s_mul_i32 s37, s28, s30
	s_mul_hi_u32 s30, s29, s30
	s_mul_hi_u32 s38, s29, s33
	s_mul_i32 s29, s29, s33
	s_mul_hi_u32 s31, s28, s33
	s_add_u32 s29, s30, s29
	s_addc_u32 s30, 0, s38
	s_add_u32 s29, s29, s37
	s_mul_i32 s33, s28, s33
	s_addc_u32 s29, s30, s36
	s_addc_u32 s30, s31, 0
	s_add_u32 s29, s29, s33
	s_addc_u32 s30, 0, s30
	v_add_co_u32 v1, s29, v1, s29
	s_delay_alu instid0(VALU_DEP_1) | instskip(SKIP_2) | instid1(SALU_CYCLE_1)
	s_cmp_lg_u32 s29, 0
	s_addc_u32 s33, s28, s30
	s_ashr_i32 s28, s27, 31
	s_add_u32 s30, s26, s28
	s_addc_u32 s31, s27, s28
	v_readfirstlane_b32 s27, v1
	s_mov_b32 s29, s28
	s_delay_alu instid0(SALU_CYCLE_1) | instskip(NEXT) | instid1(SALU_CYCLE_1)
	s_xor_b64 s[30:31], s[30:31], s[28:29]
	s_mul_i32 s37, s30, s33
	s_delay_alu instid0(VALU_DEP_1)
	s_mul_hi_u32 s38, s30, s27
	s_mul_hi_u32 s36, s30, s33
	;; [unrolled: 1-line block ×3, first 2 shown]
	s_mul_i32 s27, s31, s27
	s_add_u32 s37, s38, s37
	s_addc_u32 s36, 0, s36
	s_mul_hi_u32 s39, s31, s33
	s_add_u32 s27, s37, s27
	s_mul_i32 s33, s31, s33
	s_addc_u32 s27, s36, s40
	s_addc_u32 s36, s39, 0
	s_add_u32 s27, s27, s33
	s_addc_u32 s33, 0, s36
	s_mul_i32 s39, s12, s27
	s_mul_hi_u32 s36, s12, s27
	s_mul_i32 s38, s12, s33
	v_sub_co_u32 v1, s30, s30, s39
	s_mul_i32 s37, s13, s27
	s_add_i32 s36, s36, s38
	s_delay_alu instid0(SALU_CYCLE_1) | instskip(NEXT) | instid1(VALU_DEP_1)
	s_add_i32 s36, s36, s37
	v_sub_co_u32 v2, s38, v1, s12
	s_sub_i32 s37, s31, s36
	s_cmp_lg_u32 s30, 0
	s_subb_u32 s37, s37, s13
	s_cmp_lg_u32 s38, 0
	v_readfirstlane_b32 s38, v2
	s_subb_u32 s37, s37, 0
	s_delay_alu instid0(SALU_CYCLE_1) | instskip(SKIP_1) | instid1(VALU_DEP_1)
	s_cmp_ge_u32 s37, s13
	s_cselect_b32 s39, -1, 0
	s_cmp_ge_u32 s38, s12
	s_cselect_b32 s38, -1, 0
	s_cmp_eq_u32 s37, s13
	s_cselect_b32 s37, s38, s39
	s_add_u32 s38, s27, 1
	s_addc_u32 s39, s33, 0
	s_add_u32 s40, s27, 2
	s_addc_u32 s41, s33, 0
	s_cmp_lg_u32 s37, 0
	s_cselect_b32 s37, s40, s38
	s_cselect_b32 s38, s41, s39
	s_cmp_lg_u32 s30, 0
	v_readfirstlane_b32 s30, v1
	s_subb_u32 s31, s31, s36
	s_delay_alu instid0(SALU_CYCLE_1) | instskip(SKIP_1) | instid1(VALU_DEP_1)
	s_cmp_ge_u32 s31, s13
	s_cselect_b32 s36, -1, 0
	s_cmp_ge_u32 s30, s12
	s_cselect_b32 s12, -1, 0
	s_cmp_eq_u32 s31, s13
	s_cselect_b32 s12, s12, s36
	s_delay_alu instid0(SALU_CYCLE_1)
	s_cmp_lg_u32 s12, 0
	s_cselect_b32 s13, s38, s33
	s_cselect_b32 s12, s37, s27
	s_xor_b64 s[2:3], s[28:29], s[2:3]
	s_mov_b32 s27, s7
	s_xor_b64 s[12:13], s[12:13], s[2:3]
	s_delay_alu instid0(SALU_CYCLE_1)
	s_sub_u32 s12, s12, s2
	s_subb_u32 s13, s13, s3
	s_load_b128 s[0:3], s[0:1], 0x40
	v_cvt_f32_u32_e32 v1, s8
	s_and_not1_b32 vcc_lo, exec_lo, s27
	s_cbranch_vccnz .LBB1_3
.LBB1_2:
	s_delay_alu instid0(VALU_DEP_1) | instskip(SKIP_3) | instid1(VALU_DEP_1)
	v_rcp_iflag_f32_e32 v2, v1
	s_sub_i32 s13, 0, s8
	s_waitcnt_depctr 0xfff
	v_mul_f32_e32 v2, 0x4f7ffffe, v2
	v_cvt_u32_f32_e32 v2, v2
	s_delay_alu instid0(VALU_DEP_1) | instskip(NEXT) | instid1(VALU_DEP_1)
	v_readfirstlane_b32 s12, v2
	s_mul_i32 s13, s13, s12
	s_delay_alu instid0(SALU_CYCLE_1) | instskip(NEXT) | instid1(SALU_CYCLE_1)
	s_mul_hi_u32 s13, s12, s13
	s_add_i32 s12, s12, s13
	s_delay_alu instid0(SALU_CYCLE_1) | instskip(NEXT) | instid1(SALU_CYCLE_1)
	s_mul_hi_u32 s12, s26, s12
	s_mul_i32 s13, s12, s8
	s_delay_alu instid0(SALU_CYCLE_1)
	s_sub_i32 s13, s26, s13
	s_add_i32 s26, s12, 1
	s_sub_i32 s27, s13, s8
	s_cmp_ge_u32 s13, s8
	s_cselect_b32 s12, s26, s12
	s_cselect_b32 s13, s27, s13
	s_add_i32 s26, s12, 1
	s_cmp_ge_u32 s13, s8
	s_mov_b32 s13, 0
	s_cselect_b32 s12, s26, s12
.LBB1_3:
	s_add_u32 s22, s22, s34
	s_addc_u32 s23, s23, s35
	s_load_b64 s[20:21], s[20:21], 0x0
	s_load_b64 s[16:17], s[16:17], 0x0
	;; [unrolled: 1-line block ×4, first 2 shown]
	s_or_b64 s[26:27], s[4:5], s[8:9]
	s_mov_b32 s26, 0
	s_delay_alu instid0(SALU_CYCLE_1)
	s_cmp_lg_u64 s[26:27], 0
	s_cbranch_scc0 .LBB1_27
; %bb.4:
	s_ashr_i32 s28, s9, 31
	s_delay_alu instid0(SALU_CYCLE_1) | instskip(SKIP_2) | instid1(SALU_CYCLE_1)
	s_add_u32 s30, s8, s28
	s_mov_b32 s29, s28
	s_addc_u32 s31, s9, s28
	s_xor_b64 s[30:31], s[30:31], s[28:29]
	s_delay_alu instid0(SALU_CYCLE_1) | instskip(SKIP_3) | instid1(VALU_DEP_1)
	v_cvt_f32_u32_e32 v2, s30
	v_cvt_f32_u32_e32 v3, s31
	s_sub_u32 s33, 0, s30
	s_subb_u32 s34, 0, s31
	v_fmamk_f32 v2, v3, 0x4f800000, v2
	s_delay_alu instid0(VALU_DEP_1) | instskip(SKIP_2) | instid1(VALU_DEP_1)
	v_rcp_f32_e32 v2, v2
	s_waitcnt_depctr 0xfff
	v_mul_f32_e32 v2, 0x5f7ffffc, v2
	v_mul_f32_e32 v3, 0x2f800000, v2
	s_delay_alu instid0(VALU_DEP_1) | instskip(NEXT) | instid1(VALU_DEP_1)
	v_trunc_f32_e32 v3, v3
	v_fmamk_f32 v2, v3, 0xcf800000, v2
	v_cvt_u32_f32_e32 v3, v3
	s_delay_alu instid0(VALU_DEP_2) | instskip(NEXT) | instid1(VALU_DEP_2)
	v_cvt_u32_f32_e32 v2, v2
	v_readfirstlane_b32 s9, v3
	s_delay_alu instid0(VALU_DEP_2) | instskip(NEXT) | instid1(VALU_DEP_2)
	v_readfirstlane_b32 s27, v2
	s_mul_i32 s35, s33, s9
	s_delay_alu instid0(VALU_DEP_1)
	s_mul_hi_u32 s37, s33, s27
	s_mul_i32 s36, s34, s27
	s_add_i32 s35, s37, s35
	s_mul_i32 s38, s33, s27
	s_add_i32 s35, s35, s36
	s_mul_hi_u32 s37, s27, s38
	s_mul_hi_u32 s39, s9, s38
	s_mul_i32 s36, s9, s38
	s_mul_hi_u32 s38, s27, s35
	s_mul_i32 s27, s27, s35
	s_mul_hi_u32 s40, s9, s35
	s_add_u32 s27, s37, s27
	s_addc_u32 s37, 0, s38
	s_add_u32 s27, s27, s36
	s_mul_i32 s35, s9, s35
	s_addc_u32 s27, s37, s39
	s_addc_u32 s36, s40, 0
	s_add_u32 s27, s27, s35
	s_addc_u32 s35, 0, s36
	v_add_co_u32 v2, s27, v2, s27
	s_delay_alu instid0(VALU_DEP_1) | instskip(SKIP_1) | instid1(VALU_DEP_1)
	s_cmp_lg_u32 s27, 0
	s_addc_u32 s9, s9, s35
	v_readfirstlane_b32 s27, v2
	s_mul_i32 s35, s33, s9
	s_delay_alu instid0(VALU_DEP_1)
	s_mul_hi_u32 s36, s33, s27
	s_mul_i32 s34, s34, s27
	s_add_i32 s35, s36, s35
	s_mul_i32 s33, s33, s27
	s_add_i32 s35, s35, s34
	s_mul_hi_u32 s36, s9, s33
	s_mul_i32 s37, s9, s33
	s_mul_hi_u32 s33, s27, s33
	s_mul_hi_u32 s38, s27, s35
	s_mul_i32 s27, s27, s35
	s_mul_hi_u32 s34, s9, s35
	s_add_u32 s27, s33, s27
	s_addc_u32 s33, 0, s38
	s_add_u32 s27, s27, s37
	s_mul_i32 s35, s9, s35
	s_addc_u32 s27, s33, s36
	s_addc_u32 s33, s34, 0
	s_add_u32 s27, s27, s35
	s_addc_u32 s33, 0, s33
	v_add_co_u32 v2, s27, v2, s27
	s_delay_alu instid0(VALU_DEP_1) | instskip(SKIP_2) | instid1(VALU_DEP_1)
	s_cmp_lg_u32 s27, 0
	s_addc_u32 s9, s9, s33
	s_ashr_i32 s34, s5, 31
	v_readfirstlane_b32 s27, v2
	s_add_u32 s36, s4, s34
	s_mov_b32 s35, s34
	s_addc_u32 s37, s5, s34
	s_delay_alu instid0(SALU_CYCLE_1) | instskip(NEXT) | instid1(SALU_CYCLE_1)
	s_xor_b64 s[36:37], s[36:37], s[34:35]
	s_mul_i32 s38, s36, s9
	s_mul_hi_u32 s39, s36, s27
	s_mul_hi_u32 s33, s36, s9
	;; [unrolled: 1-line block ×3, first 2 shown]
	s_mul_i32 s27, s37, s27
	s_add_u32 s38, s39, s38
	s_addc_u32 s33, 0, s33
	s_mul_hi_u32 s40, s37, s9
	s_add_u32 s27, s38, s27
	s_mul_i32 s9, s37, s9
	s_addc_u32 s27, s33, s41
	s_addc_u32 s33, s40, 0
	s_add_u32 s9, s27, s9
	s_addc_u32 s27, 0, s33
	s_mul_i32 s40, s30, s9
	s_mul_hi_u32 s33, s30, s9
	s_mul_i32 s39, s30, s27
	v_sub_co_u32 v2, s36, s36, s40
	s_mul_i32 s38, s31, s9
	s_add_i32 s33, s33, s39
	s_delay_alu instid0(SALU_CYCLE_1) | instskip(NEXT) | instid1(VALU_DEP_1)
	s_add_i32 s33, s33, s38
	v_sub_co_u32 v3, s39, v2, s30
	s_sub_i32 s38, s37, s33
	s_cmp_lg_u32 s36, 0
	s_subb_u32 s38, s38, s31
	s_cmp_lg_u32 s39, 0
	v_readfirstlane_b32 s39, v3
	s_subb_u32 s38, s38, 0
	s_delay_alu instid0(SALU_CYCLE_1) | instskip(SKIP_1) | instid1(VALU_DEP_1)
	s_cmp_ge_u32 s38, s31
	s_cselect_b32 s40, -1, 0
	s_cmp_ge_u32 s39, s30
	s_cselect_b32 s39, -1, 0
	s_cmp_eq_u32 s38, s31
	s_cselect_b32 s38, s39, s40
	s_add_u32 s39, s9, 1
	s_addc_u32 s40, s27, 0
	s_add_u32 s41, s9, 2
	s_addc_u32 s42, s27, 0
	s_cmp_lg_u32 s38, 0
	s_cselect_b32 s38, s41, s39
	s_cselect_b32 s39, s42, s40
	s_cmp_lg_u32 s36, 0
	v_readfirstlane_b32 s36, v2
	s_subb_u32 s33, s37, s33
	s_delay_alu instid0(SALU_CYCLE_1) | instskip(SKIP_1) | instid1(VALU_DEP_1)
	s_cmp_ge_u32 s33, s31
	s_cselect_b32 s37, -1, 0
	s_cmp_ge_u32 s36, s30
	s_cselect_b32 s30, -1, 0
	s_cmp_eq_u32 s33, s31
	s_cselect_b32 s30, s30, s37
	s_delay_alu instid0(SALU_CYCLE_1) | instskip(SKIP_3) | instid1(SALU_CYCLE_1)
	s_cmp_lg_u32 s30, 0
	s_cselect_b32 s31, s39, s27
	s_cselect_b32 s30, s38, s9
	s_xor_b64 s[28:29], s[34:35], s[28:29]
	s_xor_b64 s[30:31], s[30:31], s[28:29]
	s_delay_alu instid0(SALU_CYCLE_1)
	s_sub_u32 s30, s30, s28
	s_subb_u32 s31, s31, s29
	s_load_b64 s[28:29], s[10:11], 0x0
	s_and_not1_b32 vcc_lo, exec_lo, s26
	s_cbranch_vccnz .LBB1_6
.LBB1_5:
	v_rcp_iflag_f32_e32 v1, v1
	s_sub_i32 s10, 0, s8
	s_mov_b32 s31, 0
	s_waitcnt_depctr 0xfff
	v_mul_f32_e32 v1, 0x4f7ffffe, v1
	s_delay_alu instid0(VALU_DEP_1) | instskip(NEXT) | instid1(VALU_DEP_1)
	v_cvt_u32_f32_e32 v1, v1
	v_readfirstlane_b32 s9, v1
	s_delay_alu instid0(VALU_DEP_1) | instskip(NEXT) | instid1(SALU_CYCLE_1)
	s_mul_i32 s10, s10, s9
	s_mul_hi_u32 s10, s9, s10
	s_delay_alu instid0(SALU_CYCLE_1) | instskip(NEXT) | instid1(SALU_CYCLE_1)
	s_add_i32 s9, s9, s10
	s_mul_hi_u32 s9, s4, s9
	s_delay_alu instid0(SALU_CYCLE_1) | instskip(SKIP_2) | instid1(SALU_CYCLE_1)
	s_mul_i32 s10, s9, s8
	s_add_i32 s11, s9, 1
	s_sub_i32 s10, s4, s10
	s_sub_i32 s26, s10, s8
	s_cmp_ge_u32 s10, s8
	s_cselect_b32 s9, s11, s9
	s_cselect_b32 s10, s26, s10
	s_add_i32 s11, s9, 1
	s_cmp_ge_u32 s10, s8
	s_cselect_b32 s30, s11, s9
.LBB1_6:
	s_waitcnt lgkmcnt(0)
	s_mul_i32 s8, s25, s15
	s_mul_hi_u32 s9, s24, s15
	s_mul_i32 s34, s24, s15
	s_add_i32 s35, s9, s8
	s_add_u32 s8, s16, s34
	s_addc_u32 s9, s17, s35
	s_add_u32 s26, s8, s12
	s_mul_i32 s1, s15, s1
	s_mul_hi_u32 s8, s15, s0
	s_mul_i32 s0, s15, s0
	s_addc_u32 s27, s9, s13
	s_add_i32 s36, s8, s1
	s_mul_i32 s3, s14, s3
	s_mul_hi_u32 s9, s14, s2
	s_add_u32 s1, s18, s0
	s_mul_i32 s37, s14, s2
	s_addc_u32 s8, s19, s36
	s_add_i32 s38, s9, s3
	s_add_u32 s1, s1, s37
	s_addc_u32 s2, s8, s38
	s_add_u32 s1, s1, s22
	s_addc_u32 s33, s2, s23
	s_sub_u32 s8, s6, s20
	s_subb_u32 s9, 0, s21
	s_lshl_b64 s[2:3], s[28:29], 7
	s_lshl_b64 s[8:9], s[8:9], 7
	s_sub_u32 s10, s24, s12
	s_subb_u32 s11, s25, s13
	v_cmp_ge_i64_e64 s15, s[4:5], s[2:3]
	v_cmp_gt_i64_e64 s14, s[10:11], 0
	v_add_co_u32 v1, s8, s8, v0
	s_delay_alu instid0(VALU_DEP_1) | instskip(NEXT) | instid1(VALU_DEP_3)
	v_add_co_ci_u32_e64 v2, null, s9, 0, s8
	s_and_b32 s14, s14, exec_lo
	s_cselect_b32 s11, s11, 0
	s_cselect_b32 s10, s10, 0
	s_delay_alu instid0(SALU_CYCLE_1) | instskip(NEXT) | instid1(VALU_DEP_1)
	v_cmp_lt_i64_e64 s14, s[30:31], s[10:11]
	s_and_b32 s8, s14, exec_lo
	s_cselect_b32 s9, s31, s11
	s_cselect_b32 s8, s30, s10
	s_and_b32 vcc_lo, exec_lo, s15
	s_mov_b32 s10, -1
	s_cbranch_vccz .LBB1_20
; %bb.7:
	s_add_u32 s10, s1, 15
	s_addc_u32 s11, s33, 0
	v_lshlrev_b64 v[5:6], 4, v[1:2]
	s_ashr_i32 s14, s11, 31
	s_delay_alu instid0(SALU_CYCLE_1) | instskip(NEXT) | instid1(SALU_CYCLE_1)
	s_lshr_b32 s14, s14, 28
	s_add_u32 s10, s10, s14
	s_addc_u32 s31, s11, 0
	s_and_b32 s39, s10, -16
	s_delay_alu instid0(SALU_CYCLE_1) | instskip(SKIP_3) | instid1(SALU_CYCLE_1)
	s_sub_u32 s14, s39, s1
	s_subb_u32 s15, s31, s33
	s_sub_u32 s10, s8, s14
	s_subb_u32 s11, s9, s15
	s_ashr_i32 s24, s11, 31
	s_delay_alu instid0(SALU_CYCLE_1) | instskip(NEXT) | instid1(SALU_CYCLE_1)
	s_lshr_b32 s24, s24, 28
	s_add_u32 s10, s10, s24
	s_addc_u32 s11, s11, 0
	s_and_b32 s10, s10, -16
	s_delay_alu instid0(SALU_CYCLE_1)
	v_cmp_gt_i64_e32 vcc_lo, s[10:11], v[5:6]
	s_add_u32 s10, s10, s14
	s_addc_u32 s11, s11, s15
	s_and_saveexec_b32 s30, vcc_lo
	s_cbranch_execz .LBB1_10
; %bb.8:
	s_lshl_b64 s[24:25], s[28:29], 11
	s_add_u32 s22, s22, s37
	s_addc_u32 s23, s23, s38
	s_add_u32 s0, s22, s0
	s_addc_u32 s22, s23, s36
	s_lshl_b64 s[6:7], s[6:7], 11
	v_lshlrev_b32_e32 v0, 4, v0
	s_add_u32 s0, s0, s6
	s_addc_u32 s6, s22, s7
	s_add_u32 s0, s0, s39
	s_addc_u32 s6, s6, s31
	v_add_co_u32 v0, s0, s0, v0
	s_delay_alu instid0(VALU_DEP_1)
	v_add_co_ci_u32_e64 v7, null, s6, 0, s0
	s_lshl_b64 s[6:7], s[20:21], 11
	s_add_u32 s0, s12, s34
	v_add_co_u32 v3, vcc_lo, s14, v5
	s_addc_u32 s12, s13, s35
	s_add_u32 s0, s0, s39
	v_add_co_ci_u32_e32 v4, vcc_lo, s15, v6, vcc_lo
	s_addc_u32 s12, s12, s31
	v_add_co_u32 v5, vcc_lo, s0, v5
	v_add_co_ci_u32_e32 v6, vcc_lo, s12, v6, vcc_lo
	v_sub_co_u32 v0, vcc_lo, v0, s1
	v_subrev_co_ci_u32_e32 v7, vcc_lo, s33, v7, vcc_lo
	s_delay_alu instid0(VALU_DEP_4) | instskip(NEXT) | instid1(VALU_DEP_4)
	v_sub_co_u32 v5, vcc_lo, v5, s1
	v_subrev_co_ci_u32_e32 v6, vcc_lo, s33, v6, vcc_lo
	s_delay_alu instid0(VALU_DEP_4) | instskip(NEXT) | instid1(VALU_DEP_4)
	;; [unrolled: 3-line block ×3, first 2 shown]
	v_add_co_u32 v8, vcc_lo, v5, s16
	v_add_co_ci_u32_e32 v9, vcc_lo, s17, v6, vcc_lo
	s_delay_alu instid0(VALU_DEP_4) | instskip(NEXT) | instid1(VALU_DEP_4)
	v_add_co_u32 v0, vcc_lo, s18, v0
	v_add_co_ci_u32_e32 v5, vcc_lo, s19, v7, vcc_lo
	s_delay_alu instid0(VALU_DEP_4) | instskip(NEXT) | instid1(VALU_DEP_4)
	v_add_co_u32 v6, vcc_lo, v8, 8
	v_add_co_ci_u32_e32 v7, vcc_lo, 0, v9, vcc_lo
	s_mov_b64 s[6:7], 0
	s_mov_b32 s12, 0
	.p2align	6
.LBB1_9:                                ; =>This Inner Loop Header: Depth=1
	s_delay_alu instid0(VALU_DEP_2) | instskip(NEXT) | instid1(VALU_DEP_2)
	v_add_co_u32 v8, vcc_lo, v6, s6
	v_add_co_ci_u32_e32 v9, vcc_lo, s7, v7, vcc_lo
	v_add_co_u32 v3, vcc_lo, v3, s24
	v_add_co_ci_u32_e32 v4, vcc_lo, s25, v4, vcc_lo
	global_load_b128 v[8:11], v[8:9], off offset:-8
	v_add_co_u32 v12, s0, v0, s6
	v_cmp_le_i64_e32 vcc_lo, s[10:11], v[3:4]
	v_add_co_ci_u32_e64 v13, s0, s7, v5, s0
	s_add_u32 s6, s6, s24
	s_addc_u32 s7, s7, s25
	s_or_b32 s12, vcc_lo, s12
	s_waitcnt vmcnt(0)
	global_store_b128 v[12:13], v[8:11], off
	s_and_not1_b32 exec_lo, exec_lo, s12
	s_cbranch_execnz .LBB1_9
.LBB1_10:
	s_or_b32 exec_lo, exec_lo, s30
	v_cmp_gt_i64_e32 vcc_lo, s[14:15], v[1:2]
	v_cmp_gt_i64_e64 s0, s[4:5], v[1:2]
	s_delay_alu instid0(VALU_DEP_1) | instskip(NEXT) | instid1(SALU_CYCLE_1)
	s_and_b32 s6, s0, vcc_lo
	s_and_saveexec_b32 s0, s6
	s_cbranch_execz .LBB1_14
; %bb.11:
	v_mov_b32_e32 v0, 0
	s_mov_b32 s6, exec_lo
	v_cmpx_gt_i64_e64 s[8:9], v[1:2]
	s_cbranch_execz .LBB1_13
; %bb.12:
	v_add_co_u32 v3, vcc_lo, s26, v1
	v_add_co_ci_u32_e32 v4, vcc_lo, s27, v2, vcc_lo
	global_load_u8 v0, v[3:4], off
.LBB1_13:
	s_or_b32 exec_lo, exec_lo, s6
	v_add_co_u32 v3, vcc_lo, s1, v1
	v_add_co_ci_u32_e32 v4, vcc_lo, s33, v2, vcc_lo
	s_waitcnt vmcnt(0)
	global_store_b8 v[3:4], v0, off
.LBB1_14:
	s_or_b32 exec_lo, exec_lo, s0
	v_add_co_u32 v3, vcc_lo, s10, v1
	v_add_co_ci_u32_e32 v4, vcc_lo, s11, v2, vcc_lo
	s_mov_b32 s0, exec_lo
	s_delay_alu instid0(VALU_DEP_1)
	v_cmpx_gt_i64_e64 s[4:5], v[3:4]
	s_cbranch_execz .LBB1_19
; %bb.15:
	s_mov_b32 s6, 0
	s_set_inst_prefetch_distance 0x1
	s_branch .LBB1_17
	.p2align	6
.LBB1_16:                               ;   in Loop: Header=BB1_17 Depth=1
	s_or_b32 exec_lo, exec_lo, s7
	v_add_co_u32 v5, vcc_lo, s1, v3
	s_add_u32 s10, s10, s2
	v_add_co_ci_u32_e32 v6, vcc_lo, s33, v4, vcc_lo
	s_addc_u32 s11, s11, s3
	v_add_co_u32 v3, vcc_lo, s10, v1
	v_add_co_ci_u32_e32 v4, vcc_lo, s11, v2, vcc_lo
	s_waitcnt vmcnt(0)
	global_store_b8 v[5:6], v0, off
	v_cmp_le_i64_e32 vcc_lo, s[4:5], v[3:4]
	s_or_b32 s6, vcc_lo, s6
	s_delay_alu instid0(SALU_CYCLE_1)
	s_and_not1_b32 exec_lo, exec_lo, s6
	s_cbranch_execz .LBB1_19
.LBB1_17:                               ; =>This Inner Loop Header: Depth=1
	v_mov_b32_e32 v0, 0
	s_mov_b32 s7, exec_lo
	v_cmpx_gt_i64_e64 s[8:9], v[3:4]
	s_cbranch_execz .LBB1_16
; %bb.18:                               ;   in Loop: Header=BB1_17 Depth=1
	v_add_co_u32 v5, vcc_lo, s26, v3
	v_add_co_ci_u32_e32 v6, vcc_lo, s27, v4, vcc_lo
	global_load_u8 v0, v[5:6], off
	s_branch .LBB1_16
.LBB1_19:
	s_set_inst_prefetch_distance 0x2
	s_or_b32 exec_lo, exec_lo, s0
	s_mov_b32 s10, 0
.LBB1_20:
	s_delay_alu instid0(SALU_CYCLE_1)
	s_and_b32 vcc_lo, exec_lo, s10
	s_cbranch_vccz .LBB1_25
; %bb.21:
	v_mov_b32_e32 v0, 0
	s_mov_b32 s0, exec_lo
	v_cmpx_gt_i64_e64 s[8:9], v[1:2]
	s_cbranch_execz .LBB1_23
; %bb.22:
	v_add_co_u32 v3, vcc_lo, s26, v1
	v_add_co_ci_u32_e32 v4, vcc_lo, s27, v2, vcc_lo
	global_load_u8 v0, v[3:4], off
.LBB1_23:
	s_or_b32 exec_lo, exec_lo, s0
	s_delay_alu instid0(SALU_CYCLE_1)
	s_mov_b32 s0, exec_lo
	v_cmpx_gt_i64_e64 s[4:5], v[1:2]
	s_cbranch_execz .LBB1_25
; %bb.24:
	v_add_co_u32 v1, vcc_lo, s1, v1
	v_add_co_ci_u32_e32 v2, vcc_lo, s33, v2, vcc_lo
	s_waitcnt vmcnt(0)
	global_store_b8 v[1:2], v0, off
.LBB1_25:
	s_nop 0
	s_sendmsg sendmsg(MSG_DEALLOC_VGPRS)
	s_endpgm
.LBB1_26:
                                        ; implicit-def: $sgpr12_sgpr13
	s_load_b128 s[0:3], s[0:1], 0x40
	v_cvt_f32_u32_e32 v1, s8
	s_branch .LBB1_2
.LBB1_27:
                                        ; implicit-def: $sgpr30_sgpr31
	s_load_b64 s[28:29], s[10:11], 0x0
	s_branch .LBB1_5
	.section	.rodata,"a",@progbits
	.p2align	6, 0x0
	.amdhsa_kernel _ZN2at6native6detailL21chunk_cat_cuda_kernelIccEEvPPT0_PT_PlS8_S8_S8_S8_S8_lll
		.amdhsa_group_segment_fixed_size 0
		.amdhsa_private_segment_fixed_size 0
		.amdhsa_kernarg_size 88
		.amdhsa_user_sgpr_count 13
		.amdhsa_user_sgpr_dispatch_ptr 0
		.amdhsa_user_sgpr_queue_ptr 0
		.amdhsa_user_sgpr_kernarg_segment_ptr 1
		.amdhsa_user_sgpr_dispatch_id 0
		.amdhsa_user_sgpr_private_segment_size 0
		.amdhsa_wavefront_size32 1
		.amdhsa_uses_dynamic_stack 0
		.amdhsa_enable_private_segment 0
		.amdhsa_system_sgpr_workgroup_id_x 1
		.amdhsa_system_sgpr_workgroup_id_y 1
		.amdhsa_system_sgpr_workgroup_id_z 1
		.amdhsa_system_sgpr_workgroup_info 0
		.amdhsa_system_vgpr_workitem_id 0
		.amdhsa_next_free_vgpr 14
		.amdhsa_next_free_sgpr 43
		.amdhsa_reserve_vcc 1
		.amdhsa_float_round_mode_32 0
		.amdhsa_float_round_mode_16_64 0
		.amdhsa_float_denorm_mode_32 3
		.amdhsa_float_denorm_mode_16_64 3
		.amdhsa_dx10_clamp 1
		.amdhsa_ieee_mode 1
		.amdhsa_fp16_overflow 0
		.amdhsa_workgroup_processor_mode 1
		.amdhsa_memory_ordered 1
		.amdhsa_forward_progress 0
		.amdhsa_shared_vgpr_count 0
		.amdhsa_exception_fp_ieee_invalid_op 0
		.amdhsa_exception_fp_denorm_src 0
		.amdhsa_exception_fp_ieee_div_zero 0
		.amdhsa_exception_fp_ieee_overflow 0
		.amdhsa_exception_fp_ieee_underflow 0
		.amdhsa_exception_fp_ieee_inexact 0
		.amdhsa_exception_int_div_zero 0
	.end_amdhsa_kernel
	.section	.text._ZN2at6native6detailL21chunk_cat_cuda_kernelIccEEvPPT0_PT_PlS8_S8_S8_S8_S8_lll,"axG",@progbits,_ZN2at6native6detailL21chunk_cat_cuda_kernelIccEEvPPT0_PT_PlS8_S8_S8_S8_S8_lll,comdat
.Lfunc_end1:
	.size	_ZN2at6native6detailL21chunk_cat_cuda_kernelIccEEvPPT0_PT_PlS8_S8_S8_S8_S8_lll, .Lfunc_end1-_ZN2at6native6detailL21chunk_cat_cuda_kernelIccEEvPPT0_PT_PlS8_S8_S8_S8_S8_lll
                                        ; -- End function
	.section	.AMDGPU.csdata,"",@progbits
; Kernel info:
; codeLenInByte = 2716
; NumSgprs: 45
; NumVgprs: 14
; ScratchSize: 0
; MemoryBound: 0
; FloatMode: 240
; IeeeMode: 1
; LDSByteSize: 0 bytes/workgroup (compile time only)
; SGPRBlocks: 5
; VGPRBlocks: 1
; NumSGPRsForWavesPerEU: 45
; NumVGPRsForWavesPerEU: 14
; Occupancy: 16
; WaveLimiterHint : 1
; COMPUTE_PGM_RSRC2:SCRATCH_EN: 0
; COMPUTE_PGM_RSRC2:USER_SGPR: 13
; COMPUTE_PGM_RSRC2:TRAP_HANDLER: 0
; COMPUTE_PGM_RSRC2:TGID_X_EN: 1
; COMPUTE_PGM_RSRC2:TGID_Y_EN: 1
; COMPUTE_PGM_RSRC2:TGID_Z_EN: 1
; COMPUTE_PGM_RSRC2:TIDIG_COMP_CNT: 0
	.section	.text._ZN2at6native6detailL21chunk_cat_cuda_kernelIfN3c108BFloat16EEEvPPT0_PT_PlSA_SA_SA_SA_SA_lll,"axG",@progbits,_ZN2at6native6detailL21chunk_cat_cuda_kernelIfN3c108BFloat16EEEvPPT0_PT_PlSA_SA_SA_SA_SA_lll,comdat
	.globl	_ZN2at6native6detailL21chunk_cat_cuda_kernelIfN3c108BFloat16EEEvPPT0_PT_PlSA_SA_SA_SA_SA_lll ; -- Begin function _ZN2at6native6detailL21chunk_cat_cuda_kernelIfN3c108BFloat16EEEvPPT0_PT_PlSA_SA_SA_SA_SA_lll
	.p2align	8
	.type	_ZN2at6native6detailL21chunk_cat_cuda_kernelIfN3c108BFloat16EEEvPPT0_PT_PlSA_SA_SA_SA_SA_lll,@function
_ZN2at6native6detailL21chunk_cat_cuda_kernelIfN3c108BFloat16EEEvPPT0_PT_PlSA_SA_SA_SA_SA_lll: ; @_ZN2at6native6detailL21chunk_cat_cuda_kernelIfN3c108BFloat16EEEvPPT0_PT_PlSA_SA_SA_SA_SA_lll
; %bb.0:
	s_load_b512 s[16:31], s[0:1], 0x0
	s_mov_b32 s10, s13
	s_mov_b32 s11, 0
	s_delay_alu instid0(SALU_CYCLE_1)
	s_lshl_b64 s[2:3], s[10:11], 3
	s_waitcnt lgkmcnt(0)
	s_add_u32 s2, s20, s2
	s_addc_u32 s3, s21, s3
	s_load_b64 s[2:3], s[2:3], 0x0
	s_waitcnt lgkmcnt(0)
	s_lshl_b64 s[34:35], s[2:3], 3
	s_delay_alu instid0(SALU_CYCLE_1)
	s_add_u32 s24, s24, s34
	s_addc_u32 s25, s25, s35
	s_add_u32 s20, s30, s34
	s_addc_u32 s21, s31, s35
	;; [unrolled: 2-line block ×5, first 2 shown]
	s_load_b64 s[8:9], s[2:3], 0x0
	s_load_b64 s[16:17], s[0:1], 0x50
	s_waitcnt lgkmcnt(0)
	s_mul_i32 s2, s9, s14
	s_mul_hi_u32 s3, s8, s14
	s_mul_i32 s28, s8, s14
	s_add_i32 s29, s3, s2
	s_delay_alu instid0(SALU_CYCLE_1) | instskip(SKIP_1) | instid1(SALU_CYCLE_1)
	s_or_b64 s[2:3], s[28:29], s[16:17]
	s_mov_b32 s2, s11
	s_cmp_lg_u64 s[2:3], 0
	s_cbranch_scc0 .LBB2_14
; %bb.1:
	s_ashr_i32 s4, s17, 31
	s_delay_alu instid0(SALU_CYCLE_1) | instskip(SKIP_2) | instid1(SALU_CYCLE_1)
	s_add_u32 s2, s16, s4
	s_mov_b32 s5, s4
	s_addc_u32 s3, s17, s4
	s_xor_b64 s[2:3], s[2:3], s[4:5]
	s_delay_alu instid0(SALU_CYCLE_1) | instskip(SKIP_3) | instid1(VALU_DEP_1)
	v_cvt_f32_u32_e32 v1, s2
	v_cvt_f32_u32_e32 v2, s3
	s_sub_u32 s30, 0, s2
	s_subb_u32 s31, 0, s3
	v_fmamk_f32 v1, v2, 0x4f800000, v1
	s_delay_alu instid0(VALU_DEP_1) | instskip(SKIP_2) | instid1(VALU_DEP_1)
	v_rcp_f32_e32 v1, v1
	s_waitcnt_depctr 0xfff
	v_mul_f32_e32 v1, 0x5f7ffffc, v1
	v_mul_f32_e32 v2, 0x2f800000, v1
	s_delay_alu instid0(VALU_DEP_1) | instskip(NEXT) | instid1(VALU_DEP_1)
	v_trunc_f32_e32 v2, v2
	v_fmamk_f32 v1, v2, 0xcf800000, v1
	v_cvt_u32_f32_e32 v2, v2
	s_delay_alu instid0(VALU_DEP_2) | instskip(NEXT) | instid1(VALU_DEP_2)
	v_cvt_u32_f32_e32 v1, v1
	v_readfirstlane_b32 s6, v2
	s_delay_alu instid0(VALU_DEP_2) | instskip(NEXT) | instid1(VALU_DEP_2)
	v_readfirstlane_b32 s7, v1
	s_mul_i32 s33, s30, s6
	s_delay_alu instid0(VALU_DEP_1)
	s_mul_hi_u32 s37, s30, s7
	s_mul_i32 s36, s31, s7
	s_add_i32 s33, s37, s33
	s_mul_i32 s38, s30, s7
	s_add_i32 s33, s33, s36
	s_mul_hi_u32 s37, s7, s38
	s_mul_hi_u32 s39, s6, s38
	s_mul_i32 s36, s6, s38
	s_mul_hi_u32 s38, s7, s33
	s_mul_i32 s7, s7, s33
	s_mul_hi_u32 s40, s6, s33
	s_add_u32 s7, s37, s7
	s_addc_u32 s37, 0, s38
	s_add_u32 s7, s7, s36
	s_mul_i32 s33, s6, s33
	s_addc_u32 s7, s37, s39
	s_addc_u32 s36, s40, 0
	s_add_u32 s7, s7, s33
	s_addc_u32 s33, 0, s36
	v_add_co_u32 v1, s7, v1, s7
	s_delay_alu instid0(VALU_DEP_1) | instskip(SKIP_1) | instid1(VALU_DEP_1)
	s_cmp_lg_u32 s7, 0
	s_addc_u32 s6, s6, s33
	v_readfirstlane_b32 s7, v1
	s_mul_i32 s33, s30, s6
	s_delay_alu instid0(VALU_DEP_1)
	s_mul_hi_u32 s36, s30, s7
	s_mul_i32 s31, s31, s7
	s_add_i32 s33, s36, s33
	s_mul_i32 s30, s30, s7
	s_add_i32 s33, s33, s31
	s_mul_hi_u32 s36, s6, s30
	s_mul_i32 s37, s6, s30
	s_mul_hi_u32 s30, s7, s30
	s_mul_hi_u32 s38, s7, s33
	s_mul_i32 s7, s7, s33
	s_mul_hi_u32 s31, s6, s33
	s_add_u32 s7, s30, s7
	s_addc_u32 s30, 0, s38
	s_add_u32 s7, s7, s37
	s_mul_i32 s33, s6, s33
	s_addc_u32 s7, s30, s36
	s_addc_u32 s30, s31, 0
	s_add_u32 s7, s7, s33
	s_addc_u32 s30, 0, s30
	v_add_co_u32 v1, s7, v1, s7
	s_delay_alu instid0(VALU_DEP_1) | instskip(SKIP_2) | instid1(SALU_CYCLE_1)
	s_cmp_lg_u32 s7, 0
	s_addc_u32 s33, s6, s30
	s_ashr_i32 s6, s29, 31
	s_add_u32 s30, s28, s6
	s_addc_u32 s31, s29, s6
	v_readfirstlane_b32 s29, v1
	s_mov_b32 s7, s6
	s_delay_alu instid0(SALU_CYCLE_1) | instskip(NEXT) | instid1(SALU_CYCLE_1)
	s_xor_b64 s[30:31], s[30:31], s[6:7]
	s_mul_i32 s37, s30, s33
	s_delay_alu instid0(VALU_DEP_1)
	s_mul_hi_u32 s38, s30, s29
	s_mul_hi_u32 s36, s30, s33
	;; [unrolled: 1-line block ×3, first 2 shown]
	s_mul_i32 s29, s31, s29
	s_add_u32 s37, s38, s37
	s_addc_u32 s36, 0, s36
	s_mul_hi_u32 s39, s31, s33
	s_add_u32 s29, s37, s29
	s_mul_i32 s33, s31, s33
	s_addc_u32 s29, s36, s40
	s_addc_u32 s36, s39, 0
	s_add_u32 s29, s29, s33
	s_addc_u32 s33, 0, s36
	s_mul_i32 s39, s2, s29
	s_mul_hi_u32 s36, s2, s29
	s_mul_i32 s38, s2, s33
	v_sub_co_u32 v1, s30, s30, s39
	s_mul_i32 s37, s3, s29
	s_add_i32 s36, s36, s38
	s_delay_alu instid0(SALU_CYCLE_1) | instskip(NEXT) | instid1(VALU_DEP_1)
	s_add_i32 s36, s36, s37
	v_sub_co_u32 v2, s38, v1, s2
	s_sub_i32 s37, s31, s36
	s_cmp_lg_u32 s30, 0
	s_subb_u32 s37, s37, s3
	s_cmp_lg_u32 s38, 0
	v_cmp_le_u32_e32 vcc_lo, s2, v2
	s_subb_u32 s37, s37, 0
	s_delay_alu instid0(SALU_CYCLE_1)
	s_cmp_ge_u32 s37, s3
	v_cndmask_b32_e64 v2, 0, -1, vcc_lo
	s_cselect_b32 s38, -1, 0
	s_cmp_eq_u32 s37, s3
	s_cselect_b32 vcc_lo, -1, 0
	s_add_u32 s37, s29, 1
	v_cndmask_b32_e32 v2, s38, v2, vcc_lo
	s_addc_u32 s38, s33, 0
	s_add_u32 s39, s29, 2
	s_addc_u32 s40, s33, 0
	v_mov_b32_e32 v3, s39
	s_cmp_lg_u32 s30, 0
	v_cmp_le_u32_e32 vcc_lo, s2, v1
	s_subb_u32 s2, s31, s36
	s_delay_alu instid0(SALU_CYCLE_1)
	s_cmp_ge_u32 s2, s3
	v_cndmask_b32_e64 v1, 0, -1, vcc_lo
	s_cselect_b32 s30, -1, 0
	s_cmp_eq_u32 s2, s3
	v_cmp_ne_u32_e32 vcc_lo, 0, v2
	s_cselect_b32 s2, -1, 0
	v_mov_b32_e32 v2, s40
	v_cndmask_b32_e64 v1, s30, v1, s2
	s_xor_b64 s[2:3], s[6:7], s[4:5]
	v_cndmask_b32_e32 v3, s37, v3, vcc_lo
	s_delay_alu instid0(VALU_DEP_3) | instskip(NEXT) | instid1(VALU_DEP_3)
	v_cndmask_b32_e32 v2, s38, v2, vcc_lo
	v_cmp_ne_u32_e32 vcc_lo, 0, v1
	s_delay_alu instid0(VALU_DEP_2) | instskip(NEXT) | instid1(VALU_DEP_4)
	v_cndmask_b32_e32 v1, s33, v2, vcc_lo
	v_cndmask_b32_e32 v2, s29, v3, vcc_lo
	s_delay_alu instid0(VALU_DEP_2) | instskip(NEXT) | instid1(VALU_DEP_2)
	v_xor_b32_e32 v3, s3, v1
	v_xor_b32_e32 v2, s2, v2
	s_delay_alu instid0(VALU_DEP_1) | instskip(NEXT) | instid1(VALU_DEP_3)
	v_sub_co_u32 v1, vcc_lo, v2, s2
	v_subrev_co_ci_u32_e32 v2, vcc_lo, s3, v3, vcc_lo
	s_load_b128 s[4:7], s[0:1], 0x40
	v_cvt_f32_u32_e32 v5, s16
	s_and_not1_b32 vcc_lo, exec_lo, s11
	s_cbranch_vccnz .LBB2_3
.LBB2_2:
	s_delay_alu instid0(VALU_DEP_1) | instskip(SKIP_3) | instid1(VALU_DEP_1)
	v_rcp_iflag_f32_e32 v1, v5
	s_sub_i32 s1, 0, s16
	s_waitcnt_depctr 0xfff
	v_mul_f32_e32 v1, 0x4f7ffffe, v1
	v_cvt_u32_f32_e32 v1, v1
	s_delay_alu instid0(VALU_DEP_1) | instskip(NEXT) | instid1(VALU_DEP_1)
	v_readfirstlane_b32 s0, v1
	s_mul_i32 s1, s1, s0
	s_delay_alu instid0(SALU_CYCLE_1) | instskip(NEXT) | instid1(SALU_CYCLE_1)
	s_mul_hi_u32 s1, s0, s1
	s_add_i32 s0, s0, s1
	s_delay_alu instid0(SALU_CYCLE_1) | instskip(NEXT) | instid1(SALU_CYCLE_1)
	s_mul_hi_u32 s0, s28, s0
	s_mul_i32 s1, s0, s16
	s_add_i32 s2, s0, 1
	s_sub_i32 s1, s28, s1
	s_delay_alu instid0(SALU_CYCLE_1)
	s_sub_i32 s3, s1, s16
	s_cmp_ge_u32 s1, s16
	s_cselect_b32 s0, s2, s0
	s_cselect_b32 s1, s3, s1
	s_add_i32 s2, s0, 1
	s_cmp_ge_u32 s1, s16
	s_mov_b32 s1, 0
	s_cselect_b32 s0, s2, s0
	s_delay_alu instid0(SALU_CYCLE_1)
	v_dual_mov_b32 v2, s1 :: v_dual_mov_b32 v1, s0
.LBB2_3:
	s_load_b64 s[24:25], s[24:25], 0x0
	s_load_b64 s[2:3], s[26:27], 0x0
	s_add_u32 s22, s22, s34
	s_addc_u32 s23, s23, s35
	s_or_b64 s[26:27], s[8:9], s[16:17]
	s_mov_b32 s26, 0
	s_delay_alu instid0(SALU_CYCLE_1)
	s_cmp_lg_u64 s[26:27], 0
	s_cbranch_scc0 .LBB2_15
; %bb.4:
	s_ashr_i32 s28, s17, 31
	s_delay_alu instid0(SALU_CYCLE_1) | instskip(SKIP_2) | instid1(SALU_CYCLE_1)
	s_add_u32 s0, s16, s28
	s_mov_b32 s29, s28
	s_addc_u32 s1, s17, s28
	s_xor_b64 s[0:1], s[0:1], s[28:29]
	s_delay_alu instid0(SALU_CYCLE_1) | instskip(SKIP_3) | instid1(VALU_DEP_1)
	v_cvt_f32_u32_e32 v3, s0
	v_cvt_f32_u32_e32 v4, s1
	s_sub_u32 s27, 0, s0
	s_subb_u32 s30, 0, s1
	v_fmamk_f32 v3, v4, 0x4f800000, v3
	s_delay_alu instid0(VALU_DEP_1) | instskip(SKIP_2) | instid1(VALU_DEP_1)
	v_rcp_f32_e32 v3, v3
	s_waitcnt_depctr 0xfff
	v_mul_f32_e32 v3, 0x5f7ffffc, v3
	v_mul_f32_e32 v4, 0x2f800000, v3
	s_delay_alu instid0(VALU_DEP_1) | instskip(NEXT) | instid1(VALU_DEP_1)
	v_trunc_f32_e32 v4, v4
	v_fmamk_f32 v3, v4, 0xcf800000, v3
	v_cvt_u32_f32_e32 v4, v4
	s_delay_alu instid0(VALU_DEP_2) | instskip(NEXT) | instid1(VALU_DEP_2)
	v_cvt_u32_f32_e32 v3, v3
	v_readfirstlane_b32 s11, v4
	s_delay_alu instid0(VALU_DEP_2) | instskip(NEXT) | instid1(VALU_DEP_2)
	v_readfirstlane_b32 s17, v3
	s_mul_i32 s31, s27, s11
	s_delay_alu instid0(VALU_DEP_1)
	s_mul_hi_u32 s34, s27, s17
	s_mul_i32 s33, s30, s17
	s_add_i32 s31, s34, s31
	s_mul_i32 s35, s27, s17
	s_add_i32 s31, s31, s33
	s_mul_hi_u32 s34, s17, s35
	s_mul_hi_u32 s36, s11, s35
	s_mul_i32 s33, s11, s35
	s_mul_hi_u32 s35, s17, s31
	s_mul_i32 s17, s17, s31
	s_mul_hi_u32 s37, s11, s31
	s_add_u32 s17, s34, s17
	s_addc_u32 s34, 0, s35
	s_add_u32 s17, s17, s33
	s_mul_i32 s31, s11, s31
	s_addc_u32 s17, s34, s36
	s_addc_u32 s33, s37, 0
	s_add_u32 s17, s17, s31
	s_addc_u32 s31, 0, s33
	v_add_co_u32 v3, s17, v3, s17
	s_delay_alu instid0(VALU_DEP_1) | instskip(SKIP_1) | instid1(VALU_DEP_1)
	s_cmp_lg_u32 s17, 0
	s_addc_u32 s11, s11, s31
	v_readfirstlane_b32 s17, v3
	s_mul_i32 s31, s27, s11
	s_delay_alu instid0(VALU_DEP_1)
	s_mul_hi_u32 s33, s27, s17
	s_mul_i32 s30, s30, s17
	s_add_i32 s31, s33, s31
	s_mul_i32 s27, s27, s17
	s_add_i32 s31, s31, s30
	s_mul_hi_u32 s33, s11, s27
	s_mul_i32 s34, s11, s27
	s_mul_hi_u32 s27, s17, s27
	s_mul_hi_u32 s35, s17, s31
	s_mul_i32 s17, s17, s31
	s_mul_hi_u32 s30, s11, s31
	s_add_u32 s17, s27, s17
	s_addc_u32 s27, 0, s35
	s_add_u32 s17, s17, s34
	s_mul_i32 s31, s11, s31
	s_addc_u32 s17, s27, s33
	s_addc_u32 s27, s30, 0
	s_add_u32 s17, s17, s31
	s_addc_u32 s27, 0, s27
	v_add_co_u32 v3, s17, v3, s17
	s_delay_alu instid0(VALU_DEP_1) | instskip(SKIP_2) | instid1(VALU_DEP_1)
	s_cmp_lg_u32 s17, 0
	s_addc_u32 s11, s11, s27
	s_ashr_i32 s30, s9, 31
	v_readfirstlane_b32 s17, v3
	s_add_u32 s34, s8, s30
	s_mov_b32 s31, s30
	s_addc_u32 s35, s9, s30
	s_delay_alu instid0(SALU_CYCLE_1) | instskip(NEXT) | instid1(SALU_CYCLE_1)
	s_xor_b64 s[34:35], s[34:35], s[30:31]
	s_mul_i32 s33, s34, s11
	s_mul_hi_u32 s36, s34, s17
	s_mul_hi_u32 s27, s34, s11
	;; [unrolled: 1-line block ×3, first 2 shown]
	s_mul_i32 s17, s35, s17
	s_add_u32 s33, s36, s33
	s_addc_u32 s27, 0, s27
	s_mul_hi_u32 s37, s35, s11
	s_add_u32 s17, s33, s17
	s_mul_i32 s11, s35, s11
	s_addc_u32 s17, s27, s38
	s_addc_u32 s27, s37, 0
	s_add_u32 s11, s17, s11
	s_addc_u32 s17, 0, s27
	s_mul_i32 s37, s0, s11
	s_mul_hi_u32 s27, s0, s11
	s_mul_i32 s36, s0, s17
	v_sub_co_u32 v3, s34, s34, s37
	s_mul_i32 s33, s1, s11
	s_add_i32 s27, s27, s36
	s_delay_alu instid0(SALU_CYCLE_1) | instskip(NEXT) | instid1(VALU_DEP_1)
	s_add_i32 s27, s27, s33
	v_sub_co_u32 v4, s36, v3, s0
	s_sub_i32 s33, s35, s27
	s_cmp_lg_u32 s34, 0
	s_subb_u32 s33, s33, s1
	s_cmp_lg_u32 s36, 0
	v_cmp_le_u32_e32 vcc_lo, s0, v4
	s_subb_u32 s33, s33, 0
	s_delay_alu instid0(SALU_CYCLE_1)
	s_cmp_ge_u32 s33, s1
	v_cndmask_b32_e64 v4, 0, -1, vcc_lo
	s_cselect_b32 s36, -1, 0
	s_cmp_eq_u32 s33, s1
	s_cselect_b32 vcc_lo, -1, 0
	s_add_u32 s33, s11, 1
	v_cndmask_b32_e32 v4, s36, v4, vcc_lo
	s_addc_u32 s36, s17, 0
	s_add_u32 s37, s11, 2
	s_addc_u32 s38, s17, 0
	s_cmp_lg_u32 s34, 0
	v_cmp_le_u32_e32 vcc_lo, s0, v3
	s_subb_u32 s0, s35, s27
	v_mov_b32_e32 v6, s37
	s_cmp_ge_u32 s0, s1
	v_cndmask_b32_e64 v3, 0, -1, vcc_lo
	s_cselect_b32 s27, -1, 0
	s_cmp_eq_u32 s0, s1
	v_cmp_ne_u32_e32 vcc_lo, 0, v4
	v_mov_b32_e32 v4, s38
	s_cselect_b32 s0, -1, 0
	s_delay_alu instid0(SALU_CYCLE_1) | instskip(SKIP_1) | instid1(VALU_DEP_3)
	v_cndmask_b32_e64 v3, s27, v3, s0
	v_cndmask_b32_e32 v6, s33, v6, vcc_lo
	v_cndmask_b32_e32 v4, s36, v4, vcc_lo
	s_xor_b64 s[0:1], s[30:31], s[28:29]
	s_delay_alu instid0(VALU_DEP_3) | instskip(NEXT) | instid1(VALU_DEP_2)
	v_cmp_ne_u32_e32 vcc_lo, 0, v3
	v_cndmask_b32_e32 v3, s17, v4, vcc_lo
	v_cndmask_b32_e32 v4, s11, v6, vcc_lo
	s_delay_alu instid0(VALU_DEP_2) | instskip(NEXT) | instid1(VALU_DEP_2)
	v_xor_b32_e32 v6, s1, v3
	v_xor_b32_e32 v4, s0, v4
	s_delay_alu instid0(VALU_DEP_1) | instskip(NEXT) | instid1(VALU_DEP_3)
	v_sub_co_u32 v3, vcc_lo, v4, s0
	v_subrev_co_ci_u32_e32 v4, vcc_lo, s1, v6, vcc_lo
	s_load_b64 s[22:23], s[22:23], 0x0
	s_load_b64 s[20:21], s[20:21], 0x0
	s_and_not1_b32 vcc_lo, exec_lo, s26
	s_cbranch_vccnz .LBB2_6
.LBB2_5:
	v_rcp_iflag_f32_e32 v3, v5
	s_sub_i32 s0, 0, s16
	s_waitcnt_depctr 0xfff
	v_mul_f32_e32 v3, 0x4f7ffffe, v3
	s_delay_alu instid0(VALU_DEP_1) | instskip(NEXT) | instid1(VALU_DEP_1)
	v_cvt_u32_f32_e32 v3, v3
	v_mul_lo_u32 v4, s0, v3
	s_delay_alu instid0(VALU_DEP_1) | instskip(NEXT) | instid1(VALU_DEP_1)
	v_mul_hi_u32 v4, v3, v4
	v_add_nc_u32_e32 v3, v3, v4
	s_delay_alu instid0(VALU_DEP_1) | instskip(NEXT) | instid1(VALU_DEP_1)
	v_mul_hi_u32 v3, s8, v3
	v_mul_lo_u32 v4, v3, s16
	v_add_nc_u32_e32 v5, 1, v3
	s_delay_alu instid0(VALU_DEP_2) | instskip(NEXT) | instid1(VALU_DEP_1)
	v_sub_nc_u32_e32 v4, s8, v4
	v_subrev_nc_u32_e32 v6, s16, v4
	v_cmp_le_u32_e32 vcc_lo, s16, v4
	s_delay_alu instid0(VALU_DEP_2) | instskip(NEXT) | instid1(VALU_DEP_1)
	v_dual_cndmask_b32 v4, v4, v6 :: v_dual_cndmask_b32 v3, v3, v5
	v_cmp_le_u32_e32 vcc_lo, s16, v4
	s_delay_alu instid0(VALU_DEP_2) | instskip(NEXT) | instid1(VALU_DEP_1)
	v_dual_mov_b32 v4, 0 :: v_dual_add_nc_u32 v5, 1, v3
	v_cndmask_b32_e32 v3, v3, v5, vcc_lo
.LBB2_6:
	s_waitcnt lgkmcnt(0)
	v_sub_co_u32 v5, vcc_lo, s2, v1
	v_sub_co_ci_u32_e32 v6, vcc_lo, s3, v2, vcc_lo
	s_mul_i32 s0, s15, s5
	s_mul_hi_u32 s1, s15, s4
	s_mul_i32 s5, s14, s7
	s_delay_alu instid0(VALU_DEP_1)
	v_cmp_lt_i64_e32 vcc_lo, 0, v[5:6]
	s_mul_hi_u32 s11, s14, s6
	s_add_i32 s1, s1, s0
	s_add_i32 s11, s11, s5
	s_sub_u32 s16, s10, s24
	s_subb_u32 s17, 0, s25
	v_dual_cndmask_b32 v6, 0, v6 :: v_dual_cndmask_b32 v5, 0, v5
	s_lshl_b64 s[16:17], s[16:17], 7
	s_mul_i32 s10, s15, s4
	s_mul_i32 s14, s14, s6
	s_lshl_b64 s[4:5], s[20:21], 7
	v_cmp_lt_i64_e32 vcc_lo, v[3:4], v[5:6]
	v_dual_cndmask_b32 v4, v6, v4 :: v_dual_cndmask_b32 v3, v5, v3
	s_delay_alu instid0(VALU_DEP_1) | instskip(SKIP_1) | instid1(VALU_DEP_1)
	v_lshrrev_b64 v[5:6], 1, v[3:4]
	v_add_co_u32 v3, s0, s16, v0
	v_add_co_ci_u32_e64 v4, null, s17, 0, s0
	s_mov_b32 s16, 0
	s_mov_b32 s17, exec_lo
	s_delay_alu instid0(VALU_DEP_1)
	v_cmpx_gt_i64_e64 v[5:6], v[3:4]
	s_cbranch_execz .LBB2_10
; %bb.7:
	s_load_b64 s[6:7], s[12:13], 0x0
	s_mul_i32 s0, s3, s15
	s_mul_hi_u32 s12, s2, s15
	s_mul_i32 s13, s2, s15
	s_add_i32 s12, s12, s0
	v_add_co_u32 v0, vcc_lo, v1, s13
	v_add_co_ci_u32_e32 v1, vcc_lo, s12, v2, vcc_lo
	v_lshlrev_b64 v[7:8], 1, v[3:4]
	s_lshl_b64 s[2:3], s[20:21], 8
	v_lshlrev_b64 v[9:10], 2, v[3:4]
	s_add_u32 s0, s22, s14
	s_addc_u32 s12, s23, s11
	s_add_u32 s0, s0, s10
	s_addc_u32 s12, s12, s1
	s_add_u32 s0, s18, s0
	s_waitcnt lgkmcnt(0)
	v_add_co_u32 v0, vcc_lo, s6, v0
	v_add_co_ci_u32_e32 v1, vcc_lo, s7, v1, vcc_lo
	s_addc_u32 s6, s19, s12
	s_delay_alu instid0(VALU_DEP_2) | instskip(NEXT) | instid1(VALU_DEP_2)
	v_add_co_u32 v0, vcc_lo, v0, v7
	v_add_co_ci_u32_e32 v1, vcc_lo, v1, v8, vcc_lo
	v_add_co_u32 v7, vcc_lo, s0, v9
	v_add_co_ci_u32_e32 v8, vcc_lo, s6, v10, vcc_lo
	s_lshl_b64 s[6:7], s[20:21], 9
	.p2align	6
.LBB2_8:                                ; =>This Inner Loop Header: Depth=1
	global_load_u16 v2, v[0:1], off
	v_add_co_u32 v3, vcc_lo, v3, s4
	v_add_co_ci_u32_e32 v4, vcc_lo, s5, v4, vcc_lo
	v_add_co_u32 v0, vcc_lo, v0, s2
	v_add_co_ci_u32_e32 v1, vcc_lo, s3, v1, vcc_lo
	s_delay_alu instid0(VALU_DEP_3)
	v_cmp_ge_i64_e32 vcc_lo, v[3:4], v[5:6]
	s_or_b32 s16, vcc_lo, s16
	s_waitcnt vmcnt(0)
	v_lshlrev_b32_e32 v2, 16, v2
	global_store_b32 v[7:8], v2, off
	v_add_co_u32 v7, s0, v7, s6
	s_delay_alu instid0(VALU_DEP_1)
	v_add_co_ci_u32_e64 v8, s0, s7, v8, s0
	s_and_not1_b32 exec_lo, exec_lo, s16
	s_cbranch_execnz .LBB2_8
; %bb.9:
	s_or_b32 exec_lo, exec_lo, s16
.LBB2_10:
	s_delay_alu instid0(SALU_CYCLE_1)
	s_or_b32 exec_lo, exec_lo, s17
	s_lshr_b64 s[2:3], s[8:9], 2
	s_mov_b32 s0, exec_lo
	v_cmpx_gt_i64_e64 s[2:3], v[3:4]
	s_cbranch_execz .LBB2_13
; %bb.11:
	s_add_u32 s0, s22, s14
	v_lshlrev_b64 v[0:1], 2, v[3:4]
	s_addc_u32 s6, s23, s11
	s_add_u32 s0, s0, s10
	s_addc_u32 s1, s6, s1
	s_add_u32 s0, s18, s0
	s_addc_u32 s1, s19, s1
	v_add_co_u32 v0, vcc_lo, s0, v0
	v_add_co_ci_u32_e32 v1, vcc_lo, s1, v1, vcc_lo
	v_mov_b32_e32 v2, 0
	s_lshl_b64 s[6:7], s[20:21], 9
	s_mov_b32 s1, 0
.LBB2_12:                               ; =>This Inner Loop Header: Depth=1
	v_add_co_u32 v3, vcc_lo, v3, s4
	v_add_co_ci_u32_e32 v4, vcc_lo, s5, v4, vcc_lo
	global_store_b32 v[0:1], v2, off
	v_add_co_u32 v0, s0, v0, s6
	v_cmp_le_i64_e32 vcc_lo, s[2:3], v[3:4]
	v_add_co_ci_u32_e64 v1, s0, s7, v1, s0
	s_or_b32 s1, vcc_lo, s1
	s_delay_alu instid0(SALU_CYCLE_1)
	s_and_not1_b32 exec_lo, exec_lo, s1
	s_cbranch_execnz .LBB2_12
.LBB2_13:
	s_nop 0
	s_sendmsg sendmsg(MSG_DEALLOC_VGPRS)
	s_endpgm
.LBB2_14:
                                        ; implicit-def: $vgpr1_vgpr2
	s_load_b128 s[4:7], s[0:1], 0x40
	v_cvt_f32_u32_e32 v5, s16
	s_branch .LBB2_2
.LBB2_15:
                                        ; implicit-def: $vgpr3_vgpr4
	s_load_b64 s[22:23], s[22:23], 0x0
	s_load_b64 s[20:21], s[20:21], 0x0
	s_branch .LBB2_5
	.section	.rodata,"a",@progbits
	.p2align	6, 0x0
	.amdhsa_kernel _ZN2at6native6detailL21chunk_cat_cuda_kernelIfN3c108BFloat16EEEvPPT0_PT_PlSA_SA_SA_SA_SA_lll
		.amdhsa_group_segment_fixed_size 0
		.amdhsa_private_segment_fixed_size 0
		.amdhsa_kernarg_size 88
		.amdhsa_user_sgpr_count 13
		.amdhsa_user_sgpr_dispatch_ptr 0
		.amdhsa_user_sgpr_queue_ptr 0
		.amdhsa_user_sgpr_kernarg_segment_ptr 1
		.amdhsa_user_sgpr_dispatch_id 0
		.amdhsa_user_sgpr_private_segment_size 0
		.amdhsa_wavefront_size32 1
		.amdhsa_uses_dynamic_stack 0
		.amdhsa_enable_private_segment 0
		.amdhsa_system_sgpr_workgroup_id_x 1
		.amdhsa_system_sgpr_workgroup_id_y 1
		.amdhsa_system_sgpr_workgroup_id_z 1
		.amdhsa_system_sgpr_workgroup_info 0
		.amdhsa_system_vgpr_workitem_id 0
		.amdhsa_next_free_vgpr 11
		.amdhsa_next_free_sgpr 41
		.amdhsa_reserve_vcc 1
		.amdhsa_float_round_mode_32 0
		.amdhsa_float_round_mode_16_64 0
		.amdhsa_float_denorm_mode_32 3
		.amdhsa_float_denorm_mode_16_64 3
		.amdhsa_dx10_clamp 1
		.amdhsa_ieee_mode 1
		.amdhsa_fp16_overflow 0
		.amdhsa_workgroup_processor_mode 1
		.amdhsa_memory_ordered 1
		.amdhsa_forward_progress 0
		.amdhsa_shared_vgpr_count 0
		.amdhsa_exception_fp_ieee_invalid_op 0
		.amdhsa_exception_fp_denorm_src 0
		.amdhsa_exception_fp_ieee_div_zero 0
		.amdhsa_exception_fp_ieee_overflow 0
		.amdhsa_exception_fp_ieee_underflow 0
		.amdhsa_exception_fp_ieee_inexact 0
		.amdhsa_exception_int_div_zero 0
	.end_amdhsa_kernel
	.section	.text._ZN2at6native6detailL21chunk_cat_cuda_kernelIfN3c108BFloat16EEEvPPT0_PT_PlSA_SA_SA_SA_SA_lll,"axG",@progbits,_ZN2at6native6detailL21chunk_cat_cuda_kernelIfN3c108BFloat16EEEvPPT0_PT_PlSA_SA_SA_SA_SA_lll,comdat
.Lfunc_end2:
	.size	_ZN2at6native6detailL21chunk_cat_cuda_kernelIfN3c108BFloat16EEEvPPT0_PT_PlSA_SA_SA_SA_SA_lll, .Lfunc_end2-_ZN2at6native6detailL21chunk_cat_cuda_kernelIfN3c108BFloat16EEEvPPT0_PT_PlSA_SA_SA_SA_SA_lll
                                        ; -- End function
	.section	.AMDGPU.csdata,"",@progbits
; Kernel info:
; codeLenInByte = 2340
; NumSgprs: 43
; NumVgprs: 11
; ScratchSize: 0
; MemoryBound: 0
; FloatMode: 240
; IeeeMode: 1
; LDSByteSize: 0 bytes/workgroup (compile time only)
; SGPRBlocks: 5
; VGPRBlocks: 1
; NumSGPRsForWavesPerEU: 43
; NumVGPRsForWavesPerEU: 11
; Occupancy: 16
; WaveLimiterHint : 1
; COMPUTE_PGM_RSRC2:SCRATCH_EN: 0
; COMPUTE_PGM_RSRC2:USER_SGPR: 13
; COMPUTE_PGM_RSRC2:TRAP_HANDLER: 0
; COMPUTE_PGM_RSRC2:TGID_X_EN: 1
; COMPUTE_PGM_RSRC2:TGID_Y_EN: 1
; COMPUTE_PGM_RSRC2:TGID_Z_EN: 1
; COMPUTE_PGM_RSRC2:TIDIG_COMP_CNT: 0
	.text
	.p2alignl 7, 3214868480
	.fill 96, 4, 3214868480
	.type	__hip_cuid_efdaed650171bec,@object ; @__hip_cuid_efdaed650171bec
	.section	.bss,"aw",@nobits
	.globl	__hip_cuid_efdaed650171bec
__hip_cuid_efdaed650171bec:
	.byte	0                               ; 0x0
	.size	__hip_cuid_efdaed650171bec, 1

	.ident	"AMD clang version 19.0.0git (https://github.com/RadeonOpenCompute/llvm-project roc-6.4.0 25133 c7fe45cf4b819c5991fe208aaa96edf142730f1d)"
	.section	".note.GNU-stack","",@progbits
	.addrsig
	.addrsig_sym __hip_cuid_efdaed650171bec
	.amdgpu_metadata
---
amdhsa.kernels:
  - .args:
      - .address_space:  global
        .offset:         0
        .size:           8
        .value_kind:     global_buffer
      - .address_space:  global
        .offset:         8
        .size:           8
        .value_kind:     global_buffer
      - .address_space:  global
        .offset:         16
        .size:           8
        .value_kind:     global_buffer
      - .address_space:  global
        .offset:         24
        .size:           8
        .value_kind:     global_buffer
      - .address_space:  global
        .offset:         32
        .size:           8
        .value_kind:     global_buffer
      - .offset:         40
        .size:           8
        .value_kind:     by_value
      - .offset:         48
        .size:           8
        .value_kind:     by_value
      - .offset:         56
        .size:           4
        .value_kind:     hidden_block_count_x
      - .offset:         60
        .size:           4
        .value_kind:     hidden_block_count_y
      - .offset:         64
        .size:           4
        .value_kind:     hidden_block_count_z
      - .offset:         68
        .size:           2
        .value_kind:     hidden_group_size_x
      - .offset:         70
        .size:           2
        .value_kind:     hidden_group_size_y
      - .offset:         72
        .size:           2
        .value_kind:     hidden_group_size_z
      - .offset:         74
        .size:           2
        .value_kind:     hidden_remainder_x
      - .offset:         76
        .size:           2
        .value_kind:     hidden_remainder_y
      - .offset:         78
        .size:           2
        .value_kind:     hidden_remainder_z
      - .offset:         96
        .size:           8
        .value_kind:     hidden_global_offset_x
      - .offset:         104
        .size:           8
        .value_kind:     hidden_global_offset_y
      - .offset:         112
        .size:           8
        .value_kind:     hidden_global_offset_z
      - .offset:         120
        .size:           2
        .value_kind:     hidden_grid_dims
    .group_segment_fixed_size: 0
    .kernarg_segment_align: 8
    .kernarg_segment_size: 312
    .language:       OpenCL C
    .language_version:
      - 2
      - 0
    .max_flat_workgroup_size: 1024
    .name:           _ZN2at6native6detailL51split_with_sizes_copy_out_contiguous_no_cast_kernelEPPcS3_PlS4_S4_ll
    .private_segment_fixed_size: 0
    .sgpr_count:     36
    .sgpr_spill_count: 0
    .symbol:         _ZN2at6native6detailL51split_with_sizes_copy_out_contiguous_no_cast_kernelEPPcS3_PlS4_S4_ll.kd
    .uniform_work_group_size: 1
    .uses_dynamic_stack: false
    .vgpr_count:     18
    .vgpr_spill_count: 0
    .wavefront_size: 32
    .workgroup_processor_mode: 1
  - .args:
      - .address_space:  global
        .offset:         0
        .size:           8
        .value_kind:     global_buffer
      - .address_space:  global
        .offset:         8
        .size:           8
        .value_kind:     global_buffer
      - .address_space:  global
        .offset:         16
        .size:           8
        .value_kind:     global_buffer
      - .address_space:  global
        .offset:         24
        .size:           8
        .value_kind:     global_buffer
      - .address_space:  global
        .offset:         32
        .size:           8
        .value_kind:     global_buffer
      - .address_space:  global
        .offset:         40
        .size:           8
        .value_kind:     global_buffer
      - .address_space:  global
        .offset:         48
        .size:           8
        .value_kind:     global_buffer
      - .address_space:  global
        .offset:         56
        .size:           8
        .value_kind:     global_buffer
      - .offset:         64
        .size:           8
        .value_kind:     by_value
      - .offset:         72
        .size:           8
        .value_kind:     by_value
      - .offset:         80
        .size:           8
        .value_kind:     by_value
    .group_segment_fixed_size: 0
    .kernarg_segment_align: 8
    .kernarg_segment_size: 88
    .language:       OpenCL C
    .language_version:
      - 2
      - 0
    .max_flat_workgroup_size: 1024
    .name:           _ZN2at6native6detailL21chunk_cat_cuda_kernelIccEEvPPT0_PT_PlS8_S8_S8_S8_S8_lll
    .private_segment_fixed_size: 0
    .sgpr_count:     45
    .sgpr_spill_count: 0
    .symbol:         _ZN2at6native6detailL21chunk_cat_cuda_kernelIccEEvPPT0_PT_PlS8_S8_S8_S8_S8_lll.kd
    .uniform_work_group_size: 1
    .uses_dynamic_stack: false
    .vgpr_count:     14
    .vgpr_spill_count: 0
    .wavefront_size: 32
    .workgroup_processor_mode: 1
  - .args:
      - .address_space:  global
        .offset:         0
        .size:           8
        .value_kind:     global_buffer
      - .address_space:  global
        .offset:         8
        .size:           8
        .value_kind:     global_buffer
      - .address_space:  global
        .offset:         16
        .size:           8
        .value_kind:     global_buffer
      - .address_space:  global
        .offset:         24
        .size:           8
        .value_kind:     global_buffer
      - .address_space:  global
        .offset:         32
        .size:           8
        .value_kind:     global_buffer
      - .address_space:  global
        .offset:         40
        .size:           8
        .value_kind:     global_buffer
      - .address_space:  global
        .offset:         48
        .size:           8
        .value_kind:     global_buffer
      - .address_space:  global
        .offset:         56
        .size:           8
        .value_kind:     global_buffer
      - .offset:         64
        .size:           8
        .value_kind:     by_value
      - .offset:         72
        .size:           8
        .value_kind:     by_value
      - .offset:         80
        .size:           8
        .value_kind:     by_value
    .group_segment_fixed_size: 0
    .kernarg_segment_align: 8
    .kernarg_segment_size: 88
    .language:       OpenCL C
    .language_version:
      - 2
      - 0
    .max_flat_workgroup_size: 1024
    .name:           _ZN2at6native6detailL21chunk_cat_cuda_kernelIfN3c108BFloat16EEEvPPT0_PT_PlSA_SA_SA_SA_SA_lll
    .private_segment_fixed_size: 0
    .sgpr_count:     43
    .sgpr_spill_count: 0
    .symbol:         _ZN2at6native6detailL21chunk_cat_cuda_kernelIfN3c108BFloat16EEEvPPT0_PT_PlSA_SA_SA_SA_SA_lll.kd
    .uniform_work_group_size: 1
    .uses_dynamic_stack: false
    .vgpr_count:     11
    .vgpr_spill_count: 0
    .wavefront_size: 32
    .workgroup_processor_mode: 1
amdhsa.target:   amdgcn-amd-amdhsa--gfx1100
amdhsa.version:
  - 1
  - 2
...

	.end_amdgpu_metadata
